;; amdgpu-corpus repo=ROCm/rocFFT kind=compiled arch=gfx1201 opt=O3
	.text
	.amdgcn_target "amdgcn-amd-amdhsa--gfx1201"
	.amdhsa_code_object_version 6
	.protected	fft_rtc_back_len560_factors_8_7_5_2_wgs_56_tpt_56_sp_op_CI_CI_unitstride_sbrr_C2R_dirReg ; -- Begin function fft_rtc_back_len560_factors_8_7_5_2_wgs_56_tpt_56_sp_op_CI_CI_unitstride_sbrr_C2R_dirReg
	.globl	fft_rtc_back_len560_factors_8_7_5_2_wgs_56_tpt_56_sp_op_CI_CI_unitstride_sbrr_C2R_dirReg
	.p2align	8
	.type	fft_rtc_back_len560_factors_8_7_5_2_wgs_56_tpt_56_sp_op_CI_CI_unitstride_sbrr_C2R_dirReg,@function
fft_rtc_back_len560_factors_8_7_5_2_wgs_56_tpt_56_sp_op_CI_CI_unitstride_sbrr_C2R_dirReg: ; @fft_rtc_back_len560_factors_8_7_5_2_wgs_56_tpt_56_sp_op_CI_CI_unitstride_sbrr_C2R_dirReg
; %bb.0:
	s_clause 0x2
	s_load_b128 s[8:11], s[0:1], 0x0
	s_load_b128 s[4:7], s[0:1], 0x58
	;; [unrolled: 1-line block ×3, first 2 shown]
	v_mul_u32_u24_e32 v1, 0x493, v0
	v_mov_b32_e32 v3, 0
	s_delay_alu instid0(VALU_DEP_2) | instskip(NEXT) | instid1(VALU_DEP_1)
	v_lshrrev_b32_e32 v1, 16, v1
	v_add_nc_u32_e32 v5, ttmp9, v1
	v_mov_b32_e32 v1, 0
	v_mov_b32_e32 v2, 0
	;; [unrolled: 1-line block ×3, first 2 shown]
	s_wait_kmcnt 0x0
	v_cmp_lt_u64_e64 s2, s[10:11], 2
	s_delay_alu instid0(VALU_DEP_1)
	s_and_b32 vcc_lo, exec_lo, s2
	s_cbranch_vccnz .LBB0_8
; %bb.1:
	s_load_b64 s[2:3], s[0:1], 0x10
	v_mov_b32_e32 v1, 0
	v_mov_b32_e32 v2, 0
	s_add_nc_u64 s[16:17], s[14:15], 8
	s_add_nc_u64 s[18:19], s[12:13], 8
	s_mov_b64 s[20:21], 1
	s_delay_alu instid0(VALU_DEP_1)
	v_dual_mov_b32 v25, v2 :: v_dual_mov_b32 v24, v1
	s_wait_kmcnt 0x0
	s_add_nc_u64 s[22:23], s[2:3], 8
	s_mov_b32 s3, 0
.LBB0_2:                                ; =>This Inner Loop Header: Depth=1
	s_load_b64 s[24:25], s[22:23], 0x0
                                        ; implicit-def: $vgpr28_vgpr29
	s_mov_b32 s2, exec_lo
	s_wait_kmcnt 0x0
	v_or_b32_e32 v4, s25, v6
	s_delay_alu instid0(VALU_DEP_1)
	v_cmpx_ne_u64_e32 0, v[3:4]
	s_wait_alu 0xfffe
	s_xor_b32 s26, exec_lo, s2
	s_cbranch_execz .LBB0_4
; %bb.3:                                ;   in Loop: Header=BB0_2 Depth=1
	s_cvt_f32_u32 s2, s24
	s_cvt_f32_u32 s27, s25
	s_sub_nc_u64 s[30:31], 0, s[24:25]
	s_wait_alu 0xfffe
	s_delay_alu instid0(SALU_CYCLE_1) | instskip(SKIP_1) | instid1(SALU_CYCLE_2)
	s_fmamk_f32 s2, s27, 0x4f800000, s2
	s_wait_alu 0xfffe
	v_s_rcp_f32 s2, s2
	s_delay_alu instid0(TRANS32_DEP_1) | instskip(SKIP_1) | instid1(SALU_CYCLE_2)
	s_mul_f32 s2, s2, 0x5f7ffffc
	s_wait_alu 0xfffe
	s_mul_f32 s27, s2, 0x2f800000
	s_wait_alu 0xfffe
	s_delay_alu instid0(SALU_CYCLE_2) | instskip(SKIP_1) | instid1(SALU_CYCLE_2)
	s_trunc_f32 s27, s27
	s_wait_alu 0xfffe
	s_fmamk_f32 s2, s27, 0xcf800000, s2
	s_cvt_u32_f32 s29, s27
	s_wait_alu 0xfffe
	s_delay_alu instid0(SALU_CYCLE_1) | instskip(SKIP_1) | instid1(SALU_CYCLE_2)
	s_cvt_u32_f32 s28, s2
	s_wait_alu 0xfffe
	s_mul_u64 s[34:35], s[30:31], s[28:29]
	s_wait_alu 0xfffe
	s_mul_hi_u32 s37, s28, s35
	s_mul_i32 s36, s28, s35
	s_mul_hi_u32 s2, s28, s34
	s_mul_i32 s33, s29, s34
	s_wait_alu 0xfffe
	s_add_nc_u64 s[36:37], s[2:3], s[36:37]
	s_mul_hi_u32 s27, s29, s34
	s_mul_hi_u32 s38, s29, s35
	s_add_co_u32 s2, s36, s33
	s_wait_alu 0xfffe
	s_add_co_ci_u32 s2, s37, s27
	s_mul_i32 s34, s29, s35
	s_add_co_ci_u32 s35, s38, 0
	s_wait_alu 0xfffe
	s_add_nc_u64 s[34:35], s[2:3], s[34:35]
	s_wait_alu 0xfffe
	v_add_co_u32 v4, s2, s28, s34
	s_delay_alu instid0(VALU_DEP_1) | instskip(SKIP_1) | instid1(VALU_DEP_1)
	s_cmp_lg_u32 s2, 0
	s_add_co_ci_u32 s29, s29, s35
	v_readfirstlane_b32 s28, v4
	s_wait_alu 0xfffe
	s_delay_alu instid0(VALU_DEP_1)
	s_mul_u64 s[30:31], s[30:31], s[28:29]
	s_wait_alu 0xfffe
	s_mul_hi_u32 s35, s28, s31
	s_mul_i32 s34, s28, s31
	s_mul_hi_u32 s2, s28, s30
	s_mul_i32 s33, s29, s30
	s_wait_alu 0xfffe
	s_add_nc_u64 s[34:35], s[2:3], s[34:35]
	s_mul_hi_u32 s27, s29, s30
	s_mul_hi_u32 s28, s29, s31
	s_wait_alu 0xfffe
	s_add_co_u32 s2, s34, s33
	s_add_co_ci_u32 s2, s35, s27
	s_mul_i32 s30, s29, s31
	s_add_co_ci_u32 s31, s28, 0
	s_wait_alu 0xfffe
	s_add_nc_u64 s[30:31], s[2:3], s[30:31]
	s_wait_alu 0xfffe
	v_add_co_u32 v4, s2, v4, s30
	s_delay_alu instid0(VALU_DEP_1) | instskip(SKIP_1) | instid1(VALU_DEP_1)
	s_cmp_lg_u32 s2, 0
	s_add_co_ci_u32 s2, s29, s31
	v_mul_hi_u32 v13, v5, v4
	s_wait_alu 0xfffe
	v_mad_co_u64_u32 v[7:8], null, v5, s2, 0
	v_mad_co_u64_u32 v[9:10], null, v6, v4, 0
	;; [unrolled: 1-line block ×3, first 2 shown]
	s_delay_alu instid0(VALU_DEP_3) | instskip(SKIP_1) | instid1(VALU_DEP_4)
	v_add_co_u32 v4, vcc_lo, v13, v7
	s_wait_alu 0xfffd
	v_add_co_ci_u32_e32 v7, vcc_lo, 0, v8, vcc_lo
	s_delay_alu instid0(VALU_DEP_2) | instskip(SKIP_1) | instid1(VALU_DEP_2)
	v_add_co_u32 v4, vcc_lo, v4, v9
	s_wait_alu 0xfffd
	v_add_co_ci_u32_e32 v4, vcc_lo, v7, v10, vcc_lo
	s_wait_alu 0xfffd
	v_add_co_ci_u32_e32 v7, vcc_lo, 0, v12, vcc_lo
	s_delay_alu instid0(VALU_DEP_2) | instskip(SKIP_1) | instid1(VALU_DEP_2)
	v_add_co_u32 v4, vcc_lo, v4, v11
	s_wait_alu 0xfffd
	v_add_co_ci_u32_e32 v9, vcc_lo, 0, v7, vcc_lo
	s_delay_alu instid0(VALU_DEP_2) | instskip(SKIP_1) | instid1(VALU_DEP_3)
	v_mul_lo_u32 v10, s25, v4
	v_mad_co_u64_u32 v[7:8], null, s24, v4, 0
	v_mul_lo_u32 v11, s24, v9
	s_delay_alu instid0(VALU_DEP_2) | instskip(NEXT) | instid1(VALU_DEP_2)
	v_sub_co_u32 v7, vcc_lo, v5, v7
	v_add3_u32 v8, v8, v11, v10
	s_delay_alu instid0(VALU_DEP_1) | instskip(SKIP_1) | instid1(VALU_DEP_1)
	v_sub_nc_u32_e32 v10, v6, v8
	s_wait_alu 0xfffd
	v_subrev_co_ci_u32_e64 v10, s2, s25, v10, vcc_lo
	v_add_co_u32 v11, s2, v4, 2
	s_wait_alu 0xf1ff
	v_add_co_ci_u32_e64 v12, s2, 0, v9, s2
	v_sub_co_u32 v13, s2, v7, s24
	v_sub_co_ci_u32_e32 v8, vcc_lo, v6, v8, vcc_lo
	s_wait_alu 0xf1ff
	v_subrev_co_ci_u32_e64 v10, s2, 0, v10, s2
	s_delay_alu instid0(VALU_DEP_3) | instskip(NEXT) | instid1(VALU_DEP_3)
	v_cmp_le_u32_e32 vcc_lo, s24, v13
	v_cmp_eq_u32_e64 s2, s25, v8
	s_wait_alu 0xfffd
	v_cndmask_b32_e64 v13, 0, -1, vcc_lo
	v_cmp_le_u32_e32 vcc_lo, s25, v10
	s_wait_alu 0xfffd
	v_cndmask_b32_e64 v14, 0, -1, vcc_lo
	v_cmp_le_u32_e32 vcc_lo, s24, v7
	;; [unrolled: 3-line block ×3, first 2 shown]
	s_wait_alu 0xfffd
	v_cndmask_b32_e64 v15, 0, -1, vcc_lo
	v_cmp_eq_u32_e32 vcc_lo, s25, v10
	s_wait_alu 0xf1ff
	s_delay_alu instid0(VALU_DEP_2)
	v_cndmask_b32_e64 v7, v15, v7, s2
	s_wait_alu 0xfffd
	v_cndmask_b32_e32 v10, v14, v13, vcc_lo
	v_add_co_u32 v13, vcc_lo, v4, 1
	s_wait_alu 0xfffd
	v_add_co_ci_u32_e32 v14, vcc_lo, 0, v9, vcc_lo
	s_delay_alu instid0(VALU_DEP_3) | instskip(SKIP_1) | instid1(VALU_DEP_2)
	v_cmp_ne_u32_e32 vcc_lo, 0, v10
	s_wait_alu 0xfffd
	v_cndmask_b32_e32 v8, v14, v12, vcc_lo
	v_cndmask_b32_e32 v10, v13, v11, vcc_lo
	v_cmp_ne_u32_e32 vcc_lo, 0, v7
	s_wait_alu 0xfffd
	s_delay_alu instid0(VALU_DEP_2)
	v_dual_cndmask_b32 v29, v9, v8 :: v_dual_cndmask_b32 v28, v4, v10
.LBB0_4:                                ;   in Loop: Header=BB0_2 Depth=1
	s_wait_alu 0xfffe
	s_and_not1_saveexec_b32 s2, s26
	s_cbranch_execz .LBB0_6
; %bb.5:                                ;   in Loop: Header=BB0_2 Depth=1
	v_cvt_f32_u32_e32 v4, s24
	s_sub_co_i32 s26, 0, s24
	v_mov_b32_e32 v29, v3
	s_delay_alu instid0(VALU_DEP_2) | instskip(NEXT) | instid1(TRANS32_DEP_1)
	v_rcp_iflag_f32_e32 v4, v4
	v_mul_f32_e32 v4, 0x4f7ffffe, v4
	s_delay_alu instid0(VALU_DEP_1) | instskip(SKIP_1) | instid1(VALU_DEP_1)
	v_cvt_u32_f32_e32 v4, v4
	s_wait_alu 0xfffe
	v_mul_lo_u32 v7, s26, v4
	s_delay_alu instid0(VALU_DEP_1) | instskip(NEXT) | instid1(VALU_DEP_1)
	v_mul_hi_u32 v7, v4, v7
	v_add_nc_u32_e32 v4, v4, v7
	s_delay_alu instid0(VALU_DEP_1) | instskip(NEXT) | instid1(VALU_DEP_1)
	v_mul_hi_u32 v4, v5, v4
	v_mul_lo_u32 v7, v4, s24
	v_add_nc_u32_e32 v8, 1, v4
	s_delay_alu instid0(VALU_DEP_2) | instskip(NEXT) | instid1(VALU_DEP_1)
	v_sub_nc_u32_e32 v7, v5, v7
	v_subrev_nc_u32_e32 v9, s24, v7
	v_cmp_le_u32_e32 vcc_lo, s24, v7
	s_wait_alu 0xfffd
	s_delay_alu instid0(VALU_DEP_2) | instskip(NEXT) | instid1(VALU_DEP_1)
	v_dual_cndmask_b32 v7, v7, v9 :: v_dual_cndmask_b32 v4, v4, v8
	v_cmp_le_u32_e32 vcc_lo, s24, v7
	s_delay_alu instid0(VALU_DEP_2) | instskip(SKIP_1) | instid1(VALU_DEP_1)
	v_add_nc_u32_e32 v8, 1, v4
	s_wait_alu 0xfffd
	v_cndmask_b32_e32 v28, v4, v8, vcc_lo
.LBB0_6:                                ;   in Loop: Header=BB0_2 Depth=1
	s_wait_alu 0xfffe
	s_or_b32 exec_lo, exec_lo, s2
	v_mul_lo_u32 v4, v29, s24
	s_delay_alu instid0(VALU_DEP_2)
	v_mul_lo_u32 v9, v28, s25
	s_load_b64 s[26:27], s[18:19], 0x0
	v_mad_co_u64_u32 v[7:8], null, v28, s24, 0
	s_load_b64 s[24:25], s[16:17], 0x0
	s_add_nc_u64 s[20:21], s[20:21], 1
	s_add_nc_u64 s[16:17], s[16:17], 8
	s_wait_alu 0xfffe
	v_cmp_ge_u64_e64 s2, s[20:21], s[10:11]
	s_add_nc_u64 s[18:19], s[18:19], 8
	s_add_nc_u64 s[22:23], s[22:23], 8
	v_add3_u32 v4, v8, v9, v4
	v_sub_co_u32 v5, vcc_lo, v5, v7
	s_wait_alu 0xfffd
	s_delay_alu instid0(VALU_DEP_2) | instskip(SKIP_2) | instid1(VALU_DEP_1)
	v_sub_co_ci_u32_e32 v4, vcc_lo, v6, v4, vcc_lo
	s_and_b32 vcc_lo, exec_lo, s2
	s_wait_kmcnt 0x0
	v_mul_lo_u32 v6, s26, v4
	v_mul_lo_u32 v7, s27, v5
	v_mad_co_u64_u32 v[1:2], null, s26, v5, v[1:2]
	v_mul_lo_u32 v4, s24, v4
	v_mul_lo_u32 v8, s25, v5
	v_mad_co_u64_u32 v[24:25], null, s24, v5, v[24:25]
	s_delay_alu instid0(VALU_DEP_4) | instskip(NEXT) | instid1(VALU_DEP_2)
	v_add3_u32 v2, v7, v2, v6
	v_add3_u32 v25, v8, v25, v4
	s_wait_alu 0xfffe
	s_cbranch_vccnz .LBB0_9
; %bb.7:                                ;   in Loop: Header=BB0_2 Depth=1
	v_dual_mov_b32 v5, v28 :: v_dual_mov_b32 v6, v29
	s_branch .LBB0_2
.LBB0_8:
	v_dual_mov_b32 v25, v2 :: v_dual_mov_b32 v24, v1
	v_dual_mov_b32 v29, v6 :: v_dual_mov_b32 v28, v5
.LBB0_9:
	s_load_b64 s[0:1], s[0:1], 0x28
	v_mul_hi_u32 v5, 0x4924925, v0
	s_lshl_b64 s[10:11], s[10:11], 3
                                        ; implicit-def: $vgpr26
                                        ; implicit-def: $vgpr3_vgpr4
	s_wait_alu 0xfffe
	s_add_nc_u64 s[2:3], s[14:15], s[10:11]
	s_wait_kmcnt 0x0
	v_cmp_gt_u64_e32 vcc_lo, s[0:1], v[28:29]
	v_cmp_le_u64_e64 s0, s[0:1], v[28:29]
	s_delay_alu instid0(VALU_DEP_1)
	s_and_saveexec_b32 s1, s0
	s_wait_alu 0xfffe
	s_xor_b32 s0, exec_lo, s1
; %bb.10:
	v_mul_u32_u24_e32 v1, 56, v5
	v_mov_b32_e32 v27, 0
                                        ; implicit-def: $vgpr5
	s_delay_alu instid0(VALU_DEP_2) | instskip(NEXT) | instid1(VALU_DEP_1)
	v_sub_nc_u32_e32 v26, v0, v1
                                        ; implicit-def: $vgpr0
                                        ; implicit-def: $vgpr1_vgpr2
	v_dual_mov_b32 v3, v26 :: v_dual_mov_b32 v4, v27
; %bb.11:
	s_wait_alu 0xfffe
	s_or_saveexec_b32 s1, s0
	s_load_b64 s[2:3], s[2:3], 0x0
	s_xor_b32 exec_lo, exec_lo, s1
	s_cbranch_execz .LBB0_15
; %bb.12:
	s_add_nc_u64 s[10:11], s[12:13], s[10:11]
	v_mul_u32_u24_e32 v5, 56, v5
	s_load_b64 s[10:11], s[10:11], 0x0
	v_lshlrev_b64_e32 v[1:2], 3, v[1:2]
	v_mov_b32_e32 v27, 0
	s_delay_alu instid0(VALU_DEP_3) | instskip(SKIP_4) | instid1(VALU_DEP_1)
	v_sub_nc_u32_e32 v26, v0, v5
	s_wait_kmcnt 0x0
	v_mul_lo_u32 v6, s11, v28
	v_mul_lo_u32 v7, s10, v29
	v_mad_co_u64_u32 v[3:4], null, s10, v28, 0
	v_add3_u32 v4, v4, v7, v6
	s_delay_alu instid0(VALU_DEP_1) | instskip(NEXT) | instid1(VALU_DEP_1)
	v_lshlrev_b64_e32 v[3:4], 3, v[3:4]
	v_add_co_u32 v0, s0, s4, v3
	s_wait_alu 0xf1ff
	s_delay_alu instid0(VALU_DEP_2) | instskip(SKIP_1) | instid1(VALU_DEP_3)
	v_add_co_ci_u32_e64 v3, s0, s5, v4, s0
	v_lshlrev_b32_e32 v4, 3, v26
	v_add_co_u32 v0, s0, v0, v1
	s_wait_alu 0xf1ff
	s_delay_alu instid0(VALU_DEP_3) | instskip(SKIP_1) | instid1(VALU_DEP_2)
	v_add_co_ci_u32_e64 v1, s0, v3, v2, s0
	s_mov_b32 s4, exec_lo
	v_add_co_u32 v2, s0, v0, v4
	s_wait_alu 0xf1ff
	s_delay_alu instid0(VALU_DEP_2)
	v_add_co_ci_u32_e64 v3, s0, 0, v1, s0
	s_clause 0x9
	global_load_b64 v[5:6], v[2:3], off
	global_load_b64 v[7:8], v[2:3], off offset:448
	global_load_b64 v[9:10], v[2:3], off offset:896
	;; [unrolled: 1-line block ×9, first 2 shown]
	v_dual_mov_b32 v3, v26 :: v_dual_add_nc_u32 v2, 0, v4
	s_delay_alu instid0(VALU_DEP_1)
	v_dual_mov_b32 v4, v27 :: v_dual_add_nc_u32 v23, 0x400, v2
	v_add_nc_u32_e32 v32, 0x800, v2
	s_wait_loadcnt 0x8
	ds_store_2addr_b64 v2, v[5:6], v[7:8] offset1:56
	s_wait_loadcnt 0x6
	ds_store_2addr_b64 v2, v[9:10], v[11:12] offset0:112 offset1:168
	s_wait_loadcnt 0x4
	ds_store_2addr_b64 v23, v[13:14], v[15:16] offset0:96 offset1:152
	;; [unrolled: 2-line block ×4, first 2 shown]
	v_cmpx_eq_u32_e32 55, v26
	s_cbranch_execz .LBB0_14
; %bb.13:
	global_load_b64 v[0:1], v[0:1], off offset:4480
	v_dual_mov_b32 v3, 55 :: v_dual_mov_b32 v26, 55
	v_mov_b32_e32 v4, 0
	s_wait_loadcnt 0x0
	ds_store_b64 v27, v[0:1] offset:4480
.LBB0_14:
	s_wait_alu 0xfffe
	s_or_b32 exec_lo, exec_lo, s4
.LBB0_15:
	s_delay_alu instid0(SALU_CYCLE_1)
	s_or_b32 exec_lo, exec_lo, s1
	v_lshlrev_b32_e32 v0, 3, v26
	global_wb scope:SCOPE_SE
	s_wait_dscnt 0x0
	s_wait_kmcnt 0x0
	s_barrier_signal -1
	s_barrier_wait -1
	global_inv scope:SCOPE_SE
	v_add_nc_u32_e32 v50, 0, v0
	v_sub_nc_u32_e32 v2, 0, v0
	v_lshlrev_b64_e32 v[30:31], 3, v[3:4]
	s_mov_b32 s1, exec_lo
	ds_load_b32 v1, v50
	ds_load_b32 v5, v2 offset:4480
	s_wait_dscnt 0x0
	v_add_f32_e32 v0, v5, v1
	v_sub_f32_e32 v1, v1, v5
	v_cmpx_ne_u32_e32 0, v26
	s_wait_alu 0xfffe
	s_xor_b32 s1, exec_lo, s1
	s_cbranch_execz .LBB0_17
; %bb.16:
	v_add_co_u32 v3, s0, s8, v30
	s_wait_alu 0xf1ff
	v_add_co_ci_u32_e64 v4, s0, s9, v31, s0
	global_load_b64 v[3:4], v[3:4], off offset:4416
	ds_load_b32 v5, v2 offset:4484
	ds_load_b32 v6, v50 offset:4
	s_wait_dscnt 0x0
	v_dual_add_f32 v8, v5, v6 :: v_dual_sub_f32 v7, v6, v5
	s_wait_loadcnt 0x0
	v_fma_f32 v9, v1, v4, v0
	s_delay_alu instid0(VALU_DEP_2) | instskip(SKIP_2) | instid1(VALU_DEP_4)
	v_fma_f32 v5, v8, v4, v7
	v_fma_f32 v6, -v1, v4, v0
	v_fma_f32 v7, v8, v4, -v7
                                        ; implicit-def: $vgpr0
	v_fma_f32 v4, -v3, v8, v9
	s_delay_alu instid0(VALU_DEP_3) | instskip(NEXT) | instid1(VALU_DEP_3)
	v_dual_fmac_f32 v5, v1, v3 :: v_dual_fmac_f32 v6, v3, v8
	v_fmac_f32_e32 v7, v1, v3
	ds_store_b64 v50, v[4:5]
	ds_store_b64 v2, v[6:7] offset:4480
.LBB0_17:
	s_wait_alu 0xfffe
	s_and_not1_saveexec_b32 s0, s1
	s_cbranch_execz .LBB0_19
; %bb.18:
	v_mov_b32_e32 v3, 0
	ds_store_b64 v50, v[0:1]
	ds_load_b64 v[0:1], v3 offset:2240
	s_wait_dscnt 0x0
	v_dual_add_f32 v0, v0, v0 :: v_dual_mul_f32 v1, -2.0, v1
	ds_store_b64 v3, v[0:1] offset:2240
.LBB0_19:
	s_wait_alu 0xfffe
	s_or_b32 exec_lo, exec_lo, s0
	v_mov_b32_e32 v27, 0
	s_add_nc_u64 s[0:1], s[8:9], 0x1140
	v_add_nc_u32_e32 v22, 0xc00, v50
	v_add_nc_u32_e32 v21, 0x400, v50
	s_delay_alu instid0(VALU_DEP_3) | instskip(SKIP_2) | instid1(VALU_DEP_2)
	v_lshlrev_b64_e32 v[32:33], 3, v[26:27]
	v_add_nc_u32_e32 v27, 56, v26
	s_wait_alu 0xfffe
	v_add_co_u32 v0, s0, s0, v32
	s_wait_alu 0xf1ff
	s_delay_alu instid0(VALU_DEP_3)
	v_add_co_ci_u32_e64 v1, s0, s1, v33, s0
	s_clause 0x3
	global_load_b64 v[3:4], v[0:1], off offset:448
	global_load_b64 v[5:6], v[0:1], off offset:896
	global_load_b64 v[7:8], v[0:1], off offset:1344
	global_load_b64 v[0:1], v[0:1], off offset:1792
	ds_load_b64 v[9:10], v50 offset:448
	ds_load_b64 v[11:12], v2 offset:4032
	v_cmp_gt_u32_e64 s0, 14, v26
	s_wait_dscnt 0x0
	v_dual_add_f32 v14, v12, v10 :: v_dual_add_f32 v13, v9, v11
	v_sub_f32_e32 v15, v9, v11
	v_sub_f32_e32 v9, v10, v12
	s_wait_loadcnt 0x3
	s_delay_alu instid0(VALU_DEP_1) | instskip(NEXT) | instid1(VALU_DEP_3)
	v_fma_f32 v10, v14, v4, v9
	v_fma_f32 v16, v15, v4, v13
	v_fma_f32 v11, -v15, v4, v13
	s_delay_alu instid0(VALU_DEP_3) | instskip(SKIP_1) | instid1(VALU_DEP_4)
	v_fmac_f32_e32 v10, v15, v3
	v_fma_f32 v12, v14, v4, -v9
	v_fma_f32 v9, -v3, v14, v16
	s_delay_alu instid0(VALU_DEP_4) | instskip(NEXT) | instid1(VALU_DEP_3)
	v_fmac_f32_e32 v11, v3, v14
	v_fmac_f32_e32 v12, v15, v3
	ds_store_b64 v50, v[9:10] offset:448
	ds_store_b64 v2, v[11:12] offset:4032
	ds_load_b64 v[3:4], v50 offset:896
	ds_load_b64 v[9:10], v2 offset:3584
	s_wait_dscnt 0x0
	v_dual_add_f32 v11, v3, v9 :: v_dual_add_f32 v12, v10, v4
	v_sub_f32_e32 v13, v3, v9
	v_sub_f32_e32 v3, v4, v10
	s_wait_loadcnt 0x2
	s_delay_alu instid0(VALU_DEP_2) | instskip(NEXT) | instid1(VALU_DEP_2)
	v_fma_f32 v14, v13, v6, v11
	v_fma_f32 v4, v12, v6, v3
	v_fma_f32 v9, -v13, v6, v11
	v_fma_f32 v10, v12, v6, -v3
	s_delay_alu instid0(VALU_DEP_4) | instskip(NEXT) | instid1(VALU_DEP_4)
	v_fma_f32 v3, -v5, v12, v14
	v_fmac_f32_e32 v4, v13, v5
	s_delay_alu instid0(VALU_DEP_4) | instskip(NEXT) | instid1(VALU_DEP_4)
	v_fmac_f32_e32 v9, v5, v12
	v_fmac_f32_e32 v10, v13, v5
	ds_store_b64 v50, v[3:4] offset:896
	ds_store_b64 v2, v[9:10] offset:3584
	ds_load_b64 v[3:4], v50 offset:1344
	ds_load_b64 v[5:6], v2 offset:3136
	s_wait_dscnt 0x0
	v_dual_add_f32 v9, v3, v5 :: v_dual_add_f32 v10, v6, v4
	v_sub_f32_e32 v11, v3, v5
	v_sub_f32_e32 v3, v4, v6
	s_wait_loadcnt 0x1
	s_delay_alu instid0(VALU_DEP_2) | instskip(NEXT) | instid1(VALU_DEP_2)
	v_fma_f32 v12, v11, v8, v9
	v_fma_f32 v4, v10, v8, v3
	v_fma_f32 v5, -v11, v8, v9
	v_fma_f32 v6, v10, v8, -v3
	s_delay_alu instid0(VALU_DEP_4) | instskip(NEXT) | instid1(VALU_DEP_4)
	v_fma_f32 v3, -v7, v10, v12
	v_fmac_f32_e32 v4, v11, v7
	s_delay_alu instid0(VALU_DEP_4) | instskip(NEXT) | instid1(VALU_DEP_4)
	v_fmac_f32_e32 v5, v7, v10
	v_fmac_f32_e32 v6, v11, v7
	ds_store_b64 v50, v[3:4] offset:1344
	ds_store_b64 v2, v[5:6] offset:3136
	ds_load_b64 v[3:4], v50 offset:1792
	ds_load_b64 v[5:6], v2 offset:2688
	s_wait_dscnt 0x0
	v_add_f32_e32 v7, v3, v5
	v_add_f32_e32 v9, v6, v4
	v_dual_sub_f32 v3, v3, v5 :: v_dual_sub_f32 v4, v4, v6
	s_wait_loadcnt 0x0
	s_delay_alu instid0(VALU_DEP_1) | instskip(NEXT) | instid1(VALU_DEP_2)
	v_fma_f32 v5, v3, v1, v7
	v_fma_f32 v6, v9, v1, v4
	v_fma_f32 v7, -v3, v1, v7
	v_fma_f32 v8, v9, v1, -v4
	v_add_nc_u32_e32 v4, 0x800, v50
	v_fma_f32 v5, -v0, v9, v5
	s_delay_alu instid0(VALU_DEP_4) | instskip(NEXT) | instid1(VALU_DEP_4)
	v_dual_fmac_f32 v6, v3, v0 :: v_dual_fmac_f32 v7, v0, v9
	v_fmac_f32_e32 v8, v3, v0
	ds_store_b64 v50, v[5:6] offset:1792
	ds_store_b64 v2, v[7:8] offset:2688
	global_wb scope:SCOPE_SE
	s_wait_dscnt 0x0
	s_barrier_signal -1
	s_barrier_wait -1
	global_inv scope:SCOPE_SE
	global_wb scope:SCOPE_SE
	s_barrier_signal -1
	s_barrier_wait -1
	global_inv scope:SCOPE_SE
	ds_load_2addr_b64 v[0:3], v50 offset1:56
	ds_load_2addr_b64 v[5:8], v4 offset0:24 offset1:80
	ds_load_2addr_b64 v[9:12], v50 offset0:140 offset1:196
	;; [unrolled: 1-line block ×7, first 2 shown]
	v_mad_u32_u24 v21, v26, 56, v50
	global_wb scope:SCOPE_SE
	s_wait_dscnt 0x0
	s_barrier_signal -1
	s_barrier_wait -1
	global_inv scope:SCOPE_SE
	v_dual_sub_f32 v5, v0, v5 :: v_dual_sub_f32 v8, v3, v8
	v_sub_f32_e32 v16, v12, v16
	v_sub_f32_e32 v6, v1, v6
	v_dual_sub_f32 v13, v9, v13 :: v_dual_sub_f32 v36, v19, v36
	v_sub_f32_e32 v14, v10, v14
	v_dual_sub_f32 v22, v17, v34 :: v_dual_sub_f32 v23, v18, v35
	;; [unrolled: 2-line block ×3, first 2 shown]
	v_fma_f32 v3, v3, 2.0, -v8
	v_fma_f32 v12, v12, 2.0, -v16
	v_sub_f32_e32 v15, v11, v15
	v_sub_f32_e32 v37, v20, v37
	;; [unrolled: 1-line block ×3, first 2 shown]
	v_fma_f32 v44, v0, 2.0, -v5
	v_fma_f32 v0, v9, 2.0, -v13
	v_sub_f32_e32 v43, v41, v45
	v_fma_f32 v45, v1, 2.0, -v6
	v_fma_f32 v1, v10, 2.0, -v14
	;; [unrolled: 1-line block ×3, first 2 shown]
	v_sub_f32_e32 v46, v44, v0
	v_fma_f32 v10, v18, 2.0, -v23
	v_fma_f32 v17, v38, 2.0, -v34
	v_add_f32_e32 v14, v5, v14
	v_fma_f32 v18, v39, 2.0, -v35
	v_sub_f32_e32 v38, v6, v13
	v_dual_add_f32 v13, v22, v35 :: v_dual_sub_f32 v52, v3, v12
	v_sub_f32_e32 v39, v23, v34
	v_fma_f32 v11, v11, 2.0, -v15
	v_fma_f32 v19, v19, 2.0, -v36
	s_delay_alu instid0(VALU_DEP_4)
	v_fmamk_f32 v34, v13, 0x3f3504f3, v14
	v_fma_f32 v40, v40, 2.0, -v42
	v_fma_f32 v41, v41, 2.0, -v43
	v_dual_sub_f32 v15, v8, v15 :: v_dual_sub_f32 v18, v10, v18
	v_sub_f32_e32 v42, v37, v42
	v_fma_f32 v2, v2, 2.0, -v7
	v_add_f32_e32 v16, v7, v16
	v_fma_f32 v20, v20, 2.0, -v37
	v_fma_f32 v49, v6, 2.0, -v38
	;; [unrolled: 1-line block ×3, first 2 shown]
	v_add_f32_e32 v43, v36, v43
	v_fma_f32 v48, v5, 2.0, -v14
	v_dual_sub_f32 v17, v9, v17 :: v_dual_fmac_f32 v34, 0x3f3504f3, v39
	v_fma_f32 v22, v22, 2.0, -v13
	v_dual_fmamk_f32 v35, v39, 0x3f3504f3, v38 :: v_dual_sub_f32 v12, v20, v41
	v_fma_f32 v53, v7, 2.0, -v16
	v_fma_f32 v54, v8, 2.0, -v15
	;; [unrolled: 1-line block ×3, first 2 shown]
	v_dual_fmamk_f32 v6, v23, 0xbf3504f3, v49 :: v_dual_sub_f32 v47, v45, v1
	v_dual_fmamk_f32 v0, v43, 0x3f3504f3, v16 :: v_dual_sub_f32 v51, v2, v11
	v_sub_f32_e32 v11, v19, v40
	v_fma_f32 v40, v36, 2.0, -v43
	v_fma_f32 v44, v44, 2.0, -v46
	;; [unrolled: 1-line block ×5, first 2 shown]
	v_dual_fmamk_f32 v36, v40, 0xbf3504f3, v53 :: v_dual_fmamk_f32 v5, v22, 0xbf3504f3, v48
	v_dual_sub_f32 v8, v47, v17 :: v_dual_fmamk_f32 v1, v42, 0x3f3504f3, v15
	v_dual_fmac_f32 v35, 0xbf3504f3, v13 :: v_dual_fmac_f32 v6, 0xbf3504f3, v22
	v_fma_f32 v55, v2, 2.0, -v51
	v_fma_f32 v56, v3, 2.0, -v52
	;; [unrolled: 1-line block ×3, first 2 shown]
	v_add_f32_e32 v7, v46, v18
	v_fma_f32 v18, v20, 2.0, -v12
	v_dual_fmamk_f32 v37, v41, 0xbf3504f3, v54 :: v_dual_add_f32 v2, v51, v12
	v_dual_sub_f32 v3, v52, v11 :: v_dual_fmac_f32 v0, 0x3f3504f3, v42
	v_fmac_f32_e32 v1, 0xbf3504f3, v43
	v_dual_sub_f32 v9, v44, v9 :: v_dual_sub_f32 v10, v45, v10
	v_dual_fmac_f32 v5, 0x3f3504f3, v23 :: v_dual_fmac_f32 v36, 0x3f3504f3, v41
	v_fma_f32 v13, v14, 2.0, -v34
	v_fma_f32 v14, v38, 2.0, -v35
	v_dual_sub_f32 v38, v55, v17 :: v_dual_sub_f32 v39, v56, v18
	v_fmac_f32_e32 v37, 0xbf3504f3, v40
	v_fma_f32 v11, v46, 2.0, -v7
	v_fma_f32 v12, v47, 2.0, -v8
	;; [unrolled: 1-line block ×14, first 2 shown]
	ds_store_2addr_b64 v21, v[15:16], v[17:18] offset1:1
	ds_store_2addr_b64 v21, v[11:12], v[13:14] offset0:2 offset1:3
	ds_store_2addr_b64 v21, v[9:10], v[5:6] offset0:4 offset1:5
	;; [unrolled: 1-line block ×3, first 2 shown]
	s_and_saveexec_b32 s1, s0
	s_cbranch_execz .LBB0_21
; %bb.20:
	v_lshl_add_u32 v5, v27, 6, 0
	ds_store_2addr_b64 v5, v[44:45], v[46:47] offset1:1
	ds_store_2addr_b64 v5, v[42:43], v[40:41] offset0:2 offset1:3
	ds_store_2addr_b64 v5, v[38:39], v[36:37] offset0:4 offset1:5
	;; [unrolled: 1-line block ×3, first 2 shown]
.LBB0_21:
	s_wait_alu 0xfffe
	s_or_b32 exec_lo, exec_lo, s1
	global_wb scope:SCOPE_SE
	s_wait_dscnt 0x0
	s_barrier_signal -1
	s_barrier_wait -1
	global_inv scope:SCOPE_SE
	ds_load_2addr_b64 v[12:15], v50 offset1:80
	ds_load_2addr_b64 v[20:23], v50 offset0:160 offset1:240
	ds_load_2addr_b64 v[16:19], v4 offset0:64 offset1:144
	ds_load_b64 v[48:49], v50 offset:3840
	v_cmp_gt_u32_e64 s0, 24, v26
	s_delay_alu instid0(VALU_DEP_1)
	s_and_saveexec_b32 s1, s0
	s_cbranch_execz .LBB0_23
; %bb.22:
	ds_load_2addr_b64 v[0:3], v50 offset0:56 offset1:136
	v_add_nc_u32_e32 v4, 0x800, v50
	s_wait_dscnt 0x0
	v_dual_mov_b32 v45, v3 :: v_dual_add_nc_u32 v8, 0x400, v50
	v_mov_b32_e32 v35, v1
	ds_load_2addr_b64 v[4:7], v4 offset0:120 offset1:200
	ds_load_2addr_b64 v[8:11], v8 offset0:88 offset1:168
	ds_load_b64 v[36:37], v50 offset:4288
	v_mov_b32_e32 v34, v0
	s_wait_dscnt 0x2
	v_dual_mov_b32 v44, v2 :: v_dual_mov_b32 v41, v5
	v_dual_mov_b32 v40, v4 :: v_dual_mov_b32 v39, v7
	s_wait_dscnt 0x1
	v_dual_mov_b32 v38, v6 :: v_dual_mov_b32 v43, v11
	v_dual_mov_b32 v42, v10 :: v_dual_mov_b32 v47, v9
	v_mov_b32_e32 v46, v8
.LBB0_23:
	s_wait_alu 0xfffe
	s_or_b32 exec_lo, exec_lo, s1
	v_and_b32_e32 v51, 7, v26
	v_lshrrev_b32_e32 v52, 3, v26
	s_delay_alu instid0(VALU_DEP_2) | instskip(NEXT) | instid1(VALU_DEP_2)
	v_mul_u32_u24_e32 v0, 6, v51
	v_mul_u32_u24_e32 v52, 56, v52
	s_delay_alu instid0(VALU_DEP_2)
	v_lshlrev_b32_e32 v8, 3, v0
	s_clause 0x2
	global_load_b128 v[4:7], v8, s[8:9]
	global_load_b128 v[0:3], v8, s[8:9] offset:16
	global_load_b128 v[8:11], v8, s[8:9] offset:32
	global_wb scope:SCOPE_SE
	s_wait_loadcnt_dscnt 0x0
	s_barrier_signal -1
	s_barrier_wait -1
	global_inv scope:SCOPE_SE
	v_mul_f32_e32 v53, v5, v15
	v_dual_mul_f32 v54, v5, v14 :: v_dual_mul_f32 v55, v7, v21
	v_mul_f32_e32 v56, v7, v20
	v_dual_mul_f32 v58, v1, v22 :: v_dual_mul_f32 v59, v3, v17
	v_dual_mul_f32 v61, v9, v19 :: v_dual_mul_f32 v64, v11, v48
	;; [unrolled: 1-line block ×4, first 2 shown]
	s_delay_alu instid0(VALU_DEP_3)
	v_fmac_f32_e32 v61, v8, v18
	v_fmac_f32_e32 v59, v2, v16
	v_fma_f32 v16, v10, v49, -v64
	v_fmac_f32_e32 v53, v4, v14
	v_fma_f32 v14, v4, v15, -v54
	v_fma_f32 v15, v6, v21, -v56
	v_fma_f32 v18, v8, v19, -v62
	v_fmac_f32_e32 v63, v10, v48
	v_fma_f32 v17, v2, v17, -v60
	v_add_f32_e32 v21, v14, v16
	v_sub_f32_e32 v14, v14, v16
	v_fmac_f32_e32 v55, v6, v20
	v_fma_f32 v20, v0, v23, -v58
	v_add_f32_e32 v23, v15, v18
	v_sub_f32_e32 v15, v15, v18
	v_or_b32_e32 v52, v52, v51
	s_delay_alu instid0(VALU_DEP_4) | instskip(NEXT) | instid1(VALU_DEP_4)
	v_add_f32_e32 v49, v20, v17
	v_dual_add_f32 v54, v23, v21 :: v_dual_fmac_f32 v57, v0, v22
	v_sub_f32_e32 v22, v53, v63
	v_add_f32_e32 v16, v55, v61
	v_dual_sub_f32 v48, v55, v61 :: v_dual_sub_f32 v17, v17, v20
	s_delay_alu instid0(VALU_DEP_4) | instskip(SKIP_2) | instid1(VALU_DEP_2)
	v_add_f32_e32 v18, v57, v59
	v_dual_add_f32 v19, v53, v63 :: v_dual_sub_f32 v56, v23, v21
	v_lshl_add_u32 v52, v52, 3, 0
	v_add_f32_e32 v20, v16, v19
	v_sub_f32_e32 v55, v16, v19
	v_dual_sub_f32 v19, v19, v18 :: v_dual_sub_f32 v16, v18, v16
	s_delay_alu instid0(VALU_DEP_3) | instskip(SKIP_1) | instid1(VALU_DEP_2)
	v_dual_add_f32 v18, v18, v20 :: v_dual_sub_f32 v53, v59, v57
	v_sub_f32_e32 v60, v17, v15
	v_add_f32_e32 v12, v18, v12
	s_delay_alu instid0(VALU_DEP_3)
	v_add_f32_e32 v57, v53, v48
	v_dual_sub_f32 v59, v53, v48 :: v_dual_sub_f32 v48, v48, v22
	v_add_f32_e32 v58, v17, v15
	v_sub_f32_e32 v21, v21, v49
	v_sub_f32_e32 v23, v49, v23
	v_dual_add_f32 v20, v49, v54 :: v_dual_mul_f32 v49, 0x3d64c772, v16
	v_sub_f32_e32 v17, v14, v17
	v_sub_f32_e32 v15, v15, v14
	v_add_f32_e32 v14, v58, v14
	v_mul_f32_e32 v58, 0x3f08b237, v60
	v_fma_f32 v49, 0x3f3bfb3b, v55, -v49
	v_mul_f32_e32 v21, 0x3f4a47b2, v21
	v_mul_f32_e32 v54, 0x3d64c772, v23
	v_dual_mul_f32 v60, 0xbf5ff5aa, v15 :: v_dual_sub_f32 v53, v22, v53
	s_delay_alu instid0(VALU_DEP_3)
	v_dual_add_f32 v22, v57, v22 :: v_dual_fmamk_f32 v23, v23, 0x3d64c772, v21
	v_mul_f32_e32 v19, 0x3f4a47b2, v19
	v_add_f32_e32 v13, v20, v13
	v_fma_f32 v54, 0x3f3bfb3b, v56, -v54
	v_fma_f32 v21, 0xbf3bfb3b, v56, -v21
	v_fmamk_f32 v56, v17, 0xbeae86e6, v58
	v_fmamk_f32 v16, v16, 0x3d64c772, v19
	v_mul_f32_e32 v57, 0x3f08b237, v59
	v_mul_f32_e32 v59, 0xbf5ff5aa, v48
	v_fma_f32 v19, 0xbf3bfb3b, v55, -v19
	v_fmac_f32_e32 v56, 0xbee1c552, v14
	s_delay_alu instid0(VALU_DEP_4)
	v_fmamk_f32 v55, v53, 0xbeae86e6, v57
	v_fma_f32 v48, 0xbf5ff5aa, v48, -v57
	v_fma_f32 v57, 0xbf5ff5aa, v15, -v58
	;; [unrolled: 1-line block ×3, first 2 shown]
	v_fmamk_f32 v17, v20, 0xbf955555, v13
	v_fmac_f32_e32 v55, 0xbee1c552, v22
	s_delay_alu instid0(VALU_DEP_4) | instskip(SKIP_2) | instid1(VALU_DEP_2)
	v_fmac_f32_e32 v57, 0xbee1c552, v14
	v_fmamk_f32 v15, v18, 0xbf955555, v12
	v_fmac_f32_e32 v58, 0xbee1c552, v14
	v_add_f32_e32 v20, v49, v15
	s_delay_alu instid0(VALU_DEP_1) | instskip(SKIP_3) | instid1(VALU_DEP_3)
	v_sub_f32_e32 v18, v20, v57
	v_fma_f32 v53, 0x3eae86e6, v53, -v59
	v_add_f32_e32 v20, v57, v20
	v_dual_fmac_f32 v48, 0xbee1c552, v22 :: v_dual_add_f32 v59, v16, v15
	v_dual_fmac_f32 v53, 0xbee1c552, v22 :: v_dual_add_f32 v22, v19, v15
	s_delay_alu instid0(VALU_DEP_2) | instskip(SKIP_4) | instid1(VALU_DEP_4)
	v_add_f32_e32 v14, v56, v59
	v_add_f32_e32 v60, v23, v17
	;; [unrolled: 1-line block ×5, first 2 shown]
	v_dual_sub_f32 v22, v22, v58 :: v_dual_sub_f32 v15, v60, v55
	s_delay_alu instid0(VALU_DEP_4) | instskip(NEXT) | instid1(VALU_DEP_4)
	v_sub_f32_e32 v17, v23, v53
	v_add_f32_e32 v19, v48, v21
	v_sub_f32_e32 v21, v21, v48
	v_dual_add_f32 v23, v53, v23 :: v_dual_sub_f32 v48, v59, v56
	v_add_f32_e32 v49, v55, v60
	ds_store_2addr_b64 v52, v[12:13], v[14:15] offset1:8
	ds_store_2addr_b64 v52, v[16:17], v[18:19] offset0:16 offset1:24
	ds_store_2addr_b64 v52, v[20:21], v[22:23] offset0:32 offset1:40
	ds_store_b64 v52, v[48:49] offset:384
	s_and_saveexec_b32 s1, s0
	s_cbranch_execz .LBB0_25
; %bb.24:
	v_dual_mul_f32 v12, v41, v3 :: v_dual_mul_f32 v13, v43, v1
	v_mul_f32_e32 v14, v45, v5
	v_mul_f32_e32 v15, v37, v11
	;; [unrolled: 1-line block ×3, first 2 shown]
	s_delay_alu instid0(VALU_DEP_4) | instskip(NEXT) | instid1(VALU_DEP_3)
	v_dual_fmac_f32 v12, v40, v2 :: v_dual_fmac_f32 v13, v42, v0
	v_dual_mul_f32 v16, v47, v7 :: v_dual_fmac_f32 v15, v36, v10
	v_fmac_f32_e32 v14, v44, v4
	v_dual_mul_f32 v18, v39, v9 :: v_dual_mul_f32 v7, v46, v7
	v_mul_f32_e32 v9, v38, v9
	s_delay_alu instid0(VALU_DEP_4) | instskip(SKIP_2) | instid1(VALU_DEP_4)
	v_dual_mul_f32 v11, v36, v11 :: v_dual_fmac_f32 v16, v46, v6
	v_fma_f32 v4, v45, v4, -v5
	v_mul_f32_e32 v1, v42, v1
	v_fma_f32 v5, v39, v8, -v9
	v_fma_f32 v6, v47, v6, -v7
	v_mul_f32_e32 v3, v40, v3
	v_dual_sub_f32 v17, v12, v13 :: v_dual_fmac_f32 v18, v38, v8
	v_fma_f32 v10, v37, v10, -v11
	s_delay_alu instid0(VALU_DEP_4) | instskip(NEXT) | instid1(VALU_DEP_4)
	v_add_f32_e32 v8, v6, v5
	v_fma_f32 v2, v41, v2, -v3
	v_add_f32_e32 v12, v13, v12
	v_fma_f32 v0, v43, v0, -v1
	v_sub_f32_e32 v11, v14, v15
	v_dual_add_f32 v14, v14, v15 :: v_dual_add_f32 v15, v16, v18
	v_sub_f32_e32 v5, v6, v5
	s_delay_alu instid0(VALU_DEP_4) | instskip(SKIP_4) | instid1(VALU_DEP_4)
	v_add_f32_e32 v1, v0, v2
	v_add_f32_e32 v7, v4, v10
	v_sub_f32_e32 v4, v4, v10
	v_sub_f32_e32 v6, v12, v15
	;; [unrolled: 1-line block ×3, first 2 shown]
	v_dual_sub_f32 v22, v1, v8 :: v_dual_add_f32 v3, v8, v7
	v_dual_sub_f32 v9, v16, v18 :: v_dual_sub_f32 v20, v7, v1
	v_add_f32_e32 v16, v15, v14
	s_delay_alu instid0(VALU_DEP_3) | instskip(NEXT) | instid1(VALU_DEP_4)
	v_mul_f32_e32 v13, 0x3d64c772, v22
	v_add_f32_e32 v3, v1, v3
	s_delay_alu instid0(VALU_DEP_4) | instskip(NEXT) | instid1(VALU_DEP_4)
	v_dual_sub_f32 v19, v17, v9 :: v_dual_sub_f32 v18, v14, v12
	v_add_f32_e32 v12, v12, v16
	s_delay_alu instid0(VALU_DEP_3) | instskip(NEXT) | instid1(VALU_DEP_3)
	v_dual_mul_f32 v20, 0x3f4a47b2, v20 :: v_dual_add_f32 v1, v35, v3
	v_dual_sub_f32 v10, v2, v5 :: v_dual_mul_f32 v19, 0x3f08b237, v19
	s_delay_alu instid0(VALU_DEP_4) | instskip(NEXT) | instid1(VALU_DEP_3)
	v_mul_f32_e32 v16, 0x3f4a47b2, v18
	v_fmamk_f32 v35, v22, 0x3d64c772, v20
	s_delay_alu instid0(VALU_DEP_4) | instskip(SKIP_4) | instid1(VALU_DEP_3)
	v_fmamk_f32 v36, v3, 0xbf955555, v1
	v_sub_f32_e32 v21, v11, v17
	v_add_f32_e32 v17, v17, v9
	v_dual_sub_f32 v9, v9, v11 :: v_dual_mul_f32 v10, 0x3f08b237, v10
	v_dual_sub_f32 v7, v8, v7 :: v_dual_sub_f32 v8, v5, v4
	v_dual_add_f32 v17, v17, v11 :: v_dual_mul_f32 v18, 0x3d64c772, v6
	v_add_f32_e32 v35, v35, v36
	v_sub_f32_e32 v11, v4, v2
	v_dual_fmamk_f32 v23, v21, 0xbeae86e6, v19 :: v_dual_add_f32 v0, v34, v12
	v_fmamk_f32 v6, v6, 0x3d64c772, v16
	v_sub_f32_e32 v14, v15, v14
	s_delay_alu instid0(VALU_DEP_4)
	v_fmamk_f32 v34, v11, 0xbeae86e6, v10
	v_add_f32_e32 v2, v2, v5
	v_fmac_f32_e32 v23, 0xbee1c552, v17
	v_mul_f32_e32 v22, 0xbf5ff5aa, v9
	v_fma_f32 v9, 0xbf5ff5aa, v9, -v19
	v_fma_f32 v19, 0xbf5ff5aa, v8, -v10
	s_delay_alu instid0(VALU_DEP_4) | instskip(SKIP_3) | instid1(VALU_DEP_4)
	v_dual_add_f32 v2, v2, v4 :: v_dual_add_f32 v3, v23, v35
	v_fmamk_f32 v12, v12, 0xbf955555, v0
	v_fma_f32 v4, 0xbf3bfb3b, v14, -v16
	v_fma_f32 v21, 0x3eae86e6, v21, -v22
	v_fmac_f32_e32 v19, 0xbee1c552, v2
	v_mul_f32_e32 v15, 0xbf5ff5aa, v8
	v_fma_f32 v8, 0x3f3bfb3b, v14, -v18
	v_fma_f32 v5, 0xbf3bfb3b, v7, -v20
	v_fmac_f32_e32 v21, 0xbee1c552, v17
	s_delay_alu instid0(VALU_DEP_3) | instskip(NEXT) | instid1(VALU_DEP_3)
	v_dual_fmac_f32 v9, 0xbee1c552, v17 :: v_dual_add_f32 v14, v8, v12
	v_add_f32_e32 v20, v5, v36
	v_fmac_f32_e32 v34, 0xbee1c552, v2
	s_delay_alu instid0(VALU_DEP_2)
	v_dual_sub_f32 v8, v14, v19 :: v_dual_add_f32 v5, v21, v20
	v_fma_f32 v15, 0x3eae86e6, v11, -v15
	v_add_f32_e32 v16, v6, v12
	v_add_f32_e32 v6, v4, v12
	v_fma_f32 v4, 0x3f3bfb3b, v7, -v13
	v_lshrrev_b32_e32 v7, 3, v27
	v_fmac_f32_e32 v15, 0xbee1c552, v2
	v_dual_sub_f32 v11, v20, v21 :: v_dual_add_f32 v12, v34, v16
	s_delay_alu instid0(VALU_DEP_4) | instskip(NEXT) | instid1(VALU_DEP_4)
	v_dual_add_f32 v10, v4, v36 :: v_dual_sub_f32 v13, v35, v23
	v_mul_u32_u24_e32 v2, 56, v7
	s_delay_alu instid0(VALU_DEP_4) | instskip(NEXT) | instid1(VALU_DEP_3)
	v_sub_f32_e32 v4, v6, v15
	v_sub_f32_e32 v7, v10, v9
	v_add_f32_e32 v9, v9, v10
	v_add_f32_e32 v10, v15, v6
	v_or_b32_e32 v2, v2, v51
	v_add_f32_e32 v6, v19, v14
	s_delay_alu instid0(VALU_DEP_2)
	v_lshl_add_u32 v17, v2, 3, 0
	v_sub_f32_e32 v2, v16, v34
	ds_store_2addr_b64 v17, v[0:1], v[12:13] offset1:8
	ds_store_2addr_b64 v17, v[10:11], v[8:9] offset0:16 offset1:24
	ds_store_2addr_b64 v17, v[6:7], v[4:5] offset0:32 offset1:40
	ds_store_b64 v17, v[2:3] offset:384
.LBB0_25:
	s_wait_alu 0xfffe
	s_or_b32 exec_lo, exec_lo, s1
	v_dual_mov_b32 v1, 0 :: v_dual_lshlrev_b32 v0, 2, v26
	global_wb scope:SCOPE_SE
	s_wait_dscnt 0x0
	s_barrier_signal -1
	s_barrier_wait -1
	global_inv scope:SCOPE_SE
	v_lshlrev_b64_e32 v[2:3], 3, v[0:1]
	s_delay_alu instid0(VALU_DEP_1) | instskip(SKIP_1) | instid1(VALU_DEP_2)
	v_add_co_u32 v7, s0, s8, v2
	s_wait_alu 0xf1ff
	v_add_co_ci_u32_e64 v8, s0, s9, v3, s0
	v_add_co_u32 v30, s0, s8, v30
	s_clause 0x1
	global_load_b128 v[3:6], v[7:8], off offset:384
	global_load_b128 v[7:10], v[7:8], off offset:400
	v_add_nc_u32_e32 v0, 0x400, v50
	v_add_nc_u32_e32 v2, 0x800, v50
	ds_load_2addr_b64 v[11:14], v50 offset0:112 offset1:168
	ds_load_2addr_b64 v[15:18], v0 offset0:96 offset1:152
	;; [unrolled: 1-line block ×4, first 2 shown]
	ds_load_2addr_b64 v[38:41], v50 offset1:56
	s_wait_alu 0xf1ff
	v_add_co_ci_u32_e64 v31, s0, s9, v31, s0
	v_add_co_u32 v32, s0, s8, v32
	s_wait_alu 0xf1ff
	v_add_co_ci_u32_e64 v33, s0, s9, v33, s0
	global_wb scope:SCOPE_SE
	s_wait_loadcnt_dscnt 0x0
	s_barrier_signal -1
	s_barrier_wait -1
	global_inv scope:SCOPE_SE
	v_mul_f32_e32 v27, v4, v11
	v_mul_f32_e32 v23, v4, v12
	v_dual_mul_f32 v42, v6, v16 :: v_dual_mul_f32 v45, v8, v19
	v_dual_mul_f32 v43, v6, v15 :: v_dual_mul_f32 v44, v8, v20
	;; [unrolled: 1-line block ×4, first 2 shown]
	v_mul_f32_e32 v46, v10, v35
	v_dual_mul_f32 v47, v10, v34 :: v_dual_mul_f32 v4, v4, v13
	v_dual_mul_f32 v6, v17, v6 :: v_dual_fmac_f32 v23, v3, v11
	v_fma_f32 v11, v3, v12, -v27
	v_fma_f32 v12, v5, v16, -v43
	v_fmac_f32_e32 v48, v3, v13
	v_dual_fmac_f32 v44, v7, v19 :: v_dual_fmac_f32 v49, v17, v5
	v_fmac_f32_e32 v46, v9, v34
	v_fmac_f32_e32 v42, v5, v15
	v_mul_f32_e32 v52, v37, v10
	v_dual_mul_f32 v10, v36, v10 :: v_dual_fmac_f32 v51, v21, v7
	v_fma_f32 v15, v7, v20, -v45
	v_fma_f32 v3, v3, v14, -v4
	;; [unrolled: 1-line block ×5, first 2 shown]
	v_sub_f32_e32 v21, v12, v15
	v_add_f32_e32 v37, v40, v48
	v_sub_f32_e32 v7, v46, v44
	v_dual_add_f32 v5, v42, v44 :: v_dual_fmac_f32 v52, v36, v9
	v_fma_f32 v19, v9, v35, -v47
	v_dual_add_f32 v4, v38, v23 :: v_dual_sub_f32 v27, v11, v12
	v_dual_sub_f32 v6, v23, v42 :: v_dual_add_f32 v17, v12, v15
	v_dual_add_f32 v8, v23, v46 :: v_dual_sub_f32 v9, v42, v23
	s_delay_alu instid0(VALU_DEP_4)
	v_dual_sub_f32 v10, v44, v46 :: v_dual_add_f32 v35, v11, v19
	v_dual_add_f32 v16, v39, v11 :: v_dual_sub_f32 v53, v48, v49
	v_dual_sub_f32 v22, v23, v46 :: v_dual_add_f32 v43, v49, v51
	v_sub_f32_e32 v23, v42, v44
	v_dual_sub_f32 v57, v51, v52 :: v_dual_add_f32 v58, v41, v3
	v_dual_sub_f32 v34, v19, v15 :: v_dual_add_f32 v55, v48, v52
	;; [unrolled: 1-line block ×4, first 2 shown]
	v_dual_sub_f32 v18, v11, v19 :: v_dual_sub_f32 v47, v13, v14
	v_sub_f32_e32 v11, v12, v11
	v_dual_sub_f32 v45, v3, v20 :: v_dual_sub_f32 v54, v52, v51
	v_dual_sub_f32 v56, v49, v48 :: v_dual_sub_f32 v61, v3, v13
	;; [unrolled: 1-line block ×3, first 2 shown]
	v_sub_f32_e32 v64, v13, v3
	v_add_f32_e32 v42, v4, v42
	v_fma_f32 v3, -0.5, v5, v38
	v_fma_f32 v5, -0.5, v8, v38
	;; [unrolled: 1-line block ×3, first 2 shown]
	v_dual_add_f32 v17, v58, v13 :: v_dual_add_f32 v38, v9, v10
	v_add_f32_e32 v10, v16, v12
	v_add_f32_e32 v66, v6, v7
	v_fma_f32 v6, -0.5, v35, v39
	v_dual_add_f32 v35, v53, v54 :: v_dual_sub_f32 v48, v48, v52
	v_dual_add_f32 v27, v27, v34 :: v_dual_add_f32 v16, v37, v49
	v_fma_f32 v7, -0.5, v43, v40
	v_fma_f32 v40, -0.5, v55, v40
	;; [unrolled: 1-line block ×3, first 2 shown]
	v_dual_fmac_f32 v41, -0.5, v63 :: v_dual_add_f32 v34, v11, v36
	v_fmamk_f32 v9, v18, 0xbf737871, v3
	v_add_f32_e32 v37, v61, v62
	v_fmac_f32_e32 v3, 0x3f737871, v18
	v_add_f32_e32 v43, v10, v15
	v_fmamk_f32 v10, v22, 0x3f737871, v4
	v_dual_add_f32 v36, v56, v57 :: v_dual_fmamk_f32 v11, v21, 0x3f737871, v5
	v_dual_add_f32 v42, v42, v44 :: v_dual_fmac_f32 v5, 0xbf737871, v21
	v_dual_fmamk_f32 v12, v23, 0xbf737871, v6 :: v_dual_fmamk_f32 v13, v45, 0xbf737871, v7
	v_dual_fmac_f32 v6, 0x3f737871, v23 :: v_dual_add_f32 v49, v17, v14
	v_fmac_f32_e32 v4, 0xbf737871, v22
	v_dual_add_f32 v44, v16, v51 :: v_dual_fmamk_f32 v15, v47, 0x3f737871, v40
	v_fmamk_f32 v14, v48, 0x3f737871, v8
	v_fmamk_f32 v16, v60, 0xbf737871, v41
	v_fmac_f32_e32 v7, 0x3f737871, v45
	v_dual_fmac_f32 v40, 0xbf737871, v47 :: v_dual_add_f32 v17, v42, v46
	v_fmac_f32_e32 v8, 0xbf737871, v48
	v_fmac_f32_e32 v41, 0x3f737871, v60
	;; [unrolled: 1-line block ×3, first 2 shown]
	v_dual_fmac_f32 v3, 0x3f167918, v21 :: v_dual_fmac_f32 v10, 0x3f167918, v23
	v_dual_fmac_f32 v11, 0xbf167918, v18 :: v_dual_fmac_f32 v4, 0xbf167918, v23
	;; [unrolled: 1-line block ×3, first 2 shown]
	v_fmac_f32_e32 v12, 0x3f167918, v22
	v_dual_fmac_f32 v6, 0xbf167918, v22 :: v_dual_fmac_f32 v13, 0xbf167918, v47
	v_add_f32_e32 v39, v64, v65
	v_dual_fmac_f32 v15, 0xbf167918, v45 :: v_dual_fmac_f32 v8, 0xbf167918, v60
	v_fmac_f32_e32 v14, 0x3f167918, v60
	v_dual_fmac_f32 v16, 0x3f167918, v48 :: v_dual_fmac_f32 v7, 0x3f167918, v47
	v_add_f32_e32 v20, v49, v20
	v_dual_fmac_f32 v41, 0xbf167918, v48 :: v_dual_add_f32 v18, v43, v19
	v_dual_fmac_f32 v9, 0x3e9e377a, v66 :: v_dual_fmac_f32 v10, 0x3e9e377a, v27
	v_add_f32_e32 v19, v44, v52
	v_dual_fmac_f32 v11, 0x3e9e377a, v38 :: v_dual_fmac_f32 v40, 0x3e9e377a, v36
	v_dual_fmac_f32 v5, 0x3e9e377a, v38 :: v_dual_fmac_f32 v14, 0x3e9e377a, v37
	;; [unrolled: 1-line block ×6, first 2 shown]
	v_fmac_f32_e32 v16, 0x3e9e377a, v39
	v_fmac_f32_e32 v41, 0x3e9e377a, v39
	ds_store_2addr_b64 v50, v[17:18], v[9:10] offset1:56
	ds_store_2addr_b64 v50, v[11:12], v[5:6] offset0:112 offset1:168
	ds_store_2addr_b64 v0, v[3:4], v[19:20] offset0:96 offset1:152
	;; [unrolled: 1-line block ×4, first 2 shown]
	global_wb scope:SCOPE_SE
	s_wait_dscnt 0x0
	s_barrier_signal -1
	s_barrier_wait -1
	global_inv scope:SCOPE_SE
	s_clause 0x4
	global_load_b64 v[30:31], v[30:31], off offset:2176
	global_load_b64 v[34:35], v[32:33], off offset:2624
	;; [unrolled: 1-line block ×5, first 2 shown]
	ds_load_2addr_b64 v[3:6], v0 offset0:96 offset1:152
	ds_load_2addr_b64 v[7:10], v2 offset0:80 offset1:136
	;; [unrolled: 1-line block ×3, first 2 shown]
	ds_load_2addr_b64 v[15:18], v50 offset1:56
	ds_load_2addr_b64 v[19:22], v50 offset0:112 offset1:168
	global_wb scope:SCOPE_SE
	s_wait_loadcnt_dscnt 0x0
	s_barrier_signal -1
	s_barrier_wait -1
	global_inv scope:SCOPE_SE
	v_mul_f32_e32 v27, v31, v5
	v_mul_f32_e32 v23, v31, v6
	;; [unrolled: 1-line block ×3, first 2 shown]
	v_dual_mul_f32 v35, v35, v7 :: v_dual_mul_f32 v42, v33, v14
	v_mul_f32_e32 v40, v37, v10
	v_mul_f32_e32 v37, v37, v9
	v_fma_f32 v6, v30, v6, -v27
	v_mul_f32_e32 v33, v33, v13
	s_delay_alu instid0(VALU_DEP_4)
	v_dual_mul_f32 v41, v39, v12 :: v_dual_fmac_f32 v40, v36, v9
	v_dual_mul_f32 v39, v39, v11 :: v_dual_fmac_f32 v42, v32, v13
	v_fma_f32 v8, v34, v8, -v35
	v_fma_f32 v10, v36, v10, -v37
	v_dual_fmac_f32 v23, v30, v5 :: v_dual_sub_f32 v6, v16, v6
	v_fma_f32 v14, v32, v14, -v33
	v_fmac_f32_e32 v31, v34, v7
	v_fmac_f32_e32 v41, v38, v11
	v_fma_f32 v12, v38, v12, -v39
	v_sub_f32_e32 v8, v18, v8
	s_delay_alu instid0(VALU_DEP_4) | instskip(SKIP_1) | instid1(VALU_DEP_4)
	v_dual_sub_f32 v14, v4, v14 :: v_dual_sub_f32 v7, v17, v31
	v_sub_f32_e32 v10, v20, v10
	v_dual_sub_f32 v12, v22, v12 :: v_dual_sub_f32 v5, v15, v23
	v_sub_f32_e32 v9, v19, v40
	v_sub_f32_e32 v11, v21, v41
	v_sub_f32_e32 v13, v3, v42
	v_fma_f32 v16, v16, 2.0, -v6
	v_fma_f32 v15, v15, 2.0, -v5
	;; [unrolled: 1-line block ×10, first 2 shown]
	ds_store_2addr_b64 v2, v[7:8], v[9:10] offset0:80 offset1:136
	ds_store_2addr_b64 v2, v[11:12], v[13:14] offset0:192 offset1:248
	ds_store_2addr_b64 v50, v[15:16], v[17:18] offset1:56
	ds_store_2addr_b64 v50, v[19:20], v[21:22] offset0:112 offset1:168
	ds_store_2addr_b64 v0, v[3:4], v[5:6] offset0:96 offset1:152
	global_wb scope:SCOPE_SE
	s_wait_dscnt 0x0
	s_barrier_signal -1
	s_barrier_wait -1
	global_inv scope:SCOPE_SE
	s_and_saveexec_b32 s0, vcc_lo
	s_cbranch_execz .LBB0_27
; %bb.26:
	v_mul_lo_u32 v0, s3, v28
	v_mul_lo_u32 v2, s2, v29
	v_mad_co_u64_u32 v[6:7], null, s2, v28, 0
	v_mov_b32_e32 v27, v1
	v_lshlrev_b64_e32 v[10:11], 3, v[24:25]
	v_lshl_add_u32 v20, v26, 3, 0
	s_delay_alu instid0(VALU_DEP_4)
	v_add3_u32 v7, v7, v2, v0
	v_add_nc_u32_e32 v0, 56, v26
	v_lshlrev_b64_e32 v[14:15], 3, v[26:27]
	ds_load_2addr_b64 v[2:5], v20 offset1:56
	v_add_nc_u32_e32 v21, 0x400, v20
	v_lshlrev_b64_e32 v[12:13], 3, v[6:7]
	v_lshlrev_b64_e32 v[16:17], 3, v[0:1]
	v_add_nc_u32_e32 v0, 0x70, v26
	ds_load_2addr_b64 v[6:9], v20 offset0:112 offset1:168
	v_add_co_u32 v18, vcc_lo, s6, v12
	s_wait_alu 0xfffd
	v_add_co_ci_u32_e32 v19, vcc_lo, s7, v13, vcc_lo
	v_lshlrev_b64_e32 v[12:13], 3, v[0:1]
	s_delay_alu instid0(VALU_DEP_3) | instskip(SKIP_1) | instid1(VALU_DEP_3)
	v_add_co_u32 v24, vcc_lo, v18, v10
	s_wait_alu 0xfffd
	v_add_co_ci_u32_e32 v25, vcc_lo, v19, v11, vcc_lo
	v_add_nc_u32_e32 v0, 0xa8, v26
	s_delay_alu instid0(VALU_DEP_3) | instskip(SKIP_1) | instid1(VALU_DEP_3)
	v_add_co_u32 v10, vcc_lo, v24, v14
	s_wait_alu 0xfffd
	v_add_co_ci_u32_e32 v11, vcc_lo, v25, v15, vcc_lo
	v_add_co_u32 v14, vcc_lo, v24, v16
	s_wait_alu 0xfffd
	v_add_co_ci_u32_e32 v15, vcc_lo, v25, v17, vcc_lo
	v_lshlrev_b64_e32 v[16:17], 3, v[0:1]
	v_add_nc_u32_e32 v0, 0xe0, v26
	v_add_co_u32 v12, vcc_lo, v24, v12
	s_wait_alu 0xfffd
	v_add_co_ci_u32_e32 v13, vcc_lo, v25, v13, vcc_lo
	s_delay_alu instid0(VALU_DEP_3)
	v_lshlrev_b64_e32 v[18:19], 3, v[0:1]
	v_add_nc_u32_e32 v0, 0x118, v26
	v_add_co_u32 v16, vcc_lo, v24, v16
	s_wait_alu 0xfffd
	v_add_co_ci_u32_e32 v17, vcc_lo, v25, v17, vcc_lo
	s_wait_dscnt 0x1
	s_clause 0x1
	global_store_b64 v[10:11], v[2:3], off
	global_store_b64 v[14:15], v[4:5], off
	s_wait_dscnt 0x0
	s_clause 0x1
	global_store_b64 v[12:13], v[6:7], off
	global_store_b64 v[16:17], v[8:9], off
	v_lshlrev_b64_e32 v[6:7], 3, v[0:1]
	v_add_nc_u32_e32 v0, 0x150, v26
	v_add_co_u32 v14, vcc_lo, v24, v18
	v_add_nc_u32_e32 v12, 0x800, v20
	s_wait_alu 0xfffd
	v_add_co_ci_u32_e32 v15, vcc_lo, v25, v19, vcc_lo
	v_lshlrev_b64_e32 v[10:11], 3, v[0:1]
	v_add_nc_u32_e32 v0, 0x188, v26
	v_add_co_u32 v16, vcc_lo, v24, v6
	ds_load_2addr_b64 v[2:5], v21 offset0:96 offset1:152
	s_wait_alu 0xfffd
	v_add_co_ci_u32_e32 v17, vcc_lo, v25, v7, vcc_lo
	ds_load_2addr_b64 v[6:9], v12 offset0:80 offset1:136
	v_lshlrev_b64_e32 v[18:19], 3, v[0:1]
	v_add_nc_u32_e32 v0, 0x1c0, v26
	v_add_co_u32 v20, vcc_lo, v24, v10
	s_wait_alu 0xfffd
	v_add_co_ci_u32_e32 v21, vcc_lo, v25, v11, vcc_lo
	ds_load_2addr_b64 v[10:13], v12 offset0:192 offset1:248
	v_lshlrev_b64_e32 v[22:23], 3, v[0:1]
	v_add_nc_u32_e32 v0, 0x1f8, v26
	v_add_co_u32 v18, vcc_lo, v24, v18
	s_wait_alu 0xfffd
	v_add_co_ci_u32_e32 v19, vcc_lo, v25, v19, vcc_lo
	s_delay_alu instid0(VALU_DEP_3) | instskip(SKIP_3) | instid1(VALU_DEP_3)
	v_lshlrev_b64_e32 v[0:1], 3, v[0:1]
	v_add_co_u32 v22, vcc_lo, v24, v22
	s_wait_alu 0xfffd
	v_add_co_ci_u32_e32 v23, vcc_lo, v25, v23, vcc_lo
	v_add_co_u32 v0, vcc_lo, v24, v0
	s_wait_alu 0xfffd
	v_add_co_ci_u32_e32 v1, vcc_lo, v25, v1, vcc_lo
	s_wait_dscnt 0x2
	s_clause 0x1
	global_store_b64 v[14:15], v[2:3], off
	global_store_b64 v[16:17], v[4:5], off
	s_wait_dscnt 0x1
	s_clause 0x1
	global_store_b64 v[20:21], v[6:7], off
	global_store_b64 v[18:19], v[8:9], off
	;; [unrolled: 4-line block ×3, first 2 shown]
.LBB0_27:
	s_nop 0
	s_sendmsg sendmsg(MSG_DEALLOC_VGPRS)
	s_endpgm
	.section	.rodata,"a",@progbits
	.p2align	6, 0x0
	.amdhsa_kernel fft_rtc_back_len560_factors_8_7_5_2_wgs_56_tpt_56_sp_op_CI_CI_unitstride_sbrr_C2R_dirReg
		.amdhsa_group_segment_fixed_size 0
		.amdhsa_private_segment_fixed_size 0
		.amdhsa_kernarg_size 104
		.amdhsa_user_sgpr_count 2
		.amdhsa_user_sgpr_dispatch_ptr 0
		.amdhsa_user_sgpr_queue_ptr 0
		.amdhsa_user_sgpr_kernarg_segment_ptr 1
		.amdhsa_user_sgpr_dispatch_id 0
		.amdhsa_user_sgpr_private_segment_size 0
		.amdhsa_wavefront_size32 1
		.amdhsa_uses_dynamic_stack 0
		.amdhsa_enable_private_segment 0
		.amdhsa_system_sgpr_workgroup_id_x 1
		.amdhsa_system_sgpr_workgroup_id_y 0
		.amdhsa_system_sgpr_workgroup_id_z 0
		.amdhsa_system_sgpr_workgroup_info 0
		.amdhsa_system_vgpr_workitem_id 0
		.amdhsa_next_free_vgpr 67
		.amdhsa_next_free_sgpr 39
		.amdhsa_reserve_vcc 1
		.amdhsa_float_round_mode_32 0
		.amdhsa_float_round_mode_16_64 0
		.amdhsa_float_denorm_mode_32 3
		.amdhsa_float_denorm_mode_16_64 3
		.amdhsa_fp16_overflow 0
		.amdhsa_workgroup_processor_mode 1
		.amdhsa_memory_ordered 1
		.amdhsa_forward_progress 0
		.amdhsa_round_robin_scheduling 0
		.amdhsa_exception_fp_ieee_invalid_op 0
		.amdhsa_exception_fp_denorm_src 0
		.amdhsa_exception_fp_ieee_div_zero 0
		.amdhsa_exception_fp_ieee_overflow 0
		.amdhsa_exception_fp_ieee_underflow 0
		.amdhsa_exception_fp_ieee_inexact 0
		.amdhsa_exception_int_div_zero 0
	.end_amdhsa_kernel
	.text
.Lfunc_end0:
	.size	fft_rtc_back_len560_factors_8_7_5_2_wgs_56_tpt_56_sp_op_CI_CI_unitstride_sbrr_C2R_dirReg, .Lfunc_end0-fft_rtc_back_len560_factors_8_7_5_2_wgs_56_tpt_56_sp_op_CI_CI_unitstride_sbrr_C2R_dirReg
                                        ; -- End function
	.section	.AMDGPU.csdata,"",@progbits
; Kernel info:
; codeLenInByte = 7452
; NumSgprs: 41
; NumVgprs: 67
; ScratchSize: 0
; MemoryBound: 0
; FloatMode: 240
; IeeeMode: 1
; LDSByteSize: 0 bytes/workgroup (compile time only)
; SGPRBlocks: 5
; VGPRBlocks: 8
; NumSGPRsForWavesPerEU: 41
; NumVGPRsForWavesPerEU: 67
; Occupancy: 16
; WaveLimiterHint : 1
; COMPUTE_PGM_RSRC2:SCRATCH_EN: 0
; COMPUTE_PGM_RSRC2:USER_SGPR: 2
; COMPUTE_PGM_RSRC2:TRAP_HANDLER: 0
; COMPUTE_PGM_RSRC2:TGID_X_EN: 1
; COMPUTE_PGM_RSRC2:TGID_Y_EN: 0
; COMPUTE_PGM_RSRC2:TGID_Z_EN: 0
; COMPUTE_PGM_RSRC2:TIDIG_COMP_CNT: 0
	.text
	.p2alignl 7, 3214868480
	.fill 96, 4, 3214868480
	.type	__hip_cuid_ed38c8afa9f4b2c3,@object ; @__hip_cuid_ed38c8afa9f4b2c3
	.section	.bss,"aw",@nobits
	.globl	__hip_cuid_ed38c8afa9f4b2c3
__hip_cuid_ed38c8afa9f4b2c3:
	.byte	0                               ; 0x0
	.size	__hip_cuid_ed38c8afa9f4b2c3, 1

	.ident	"AMD clang version 19.0.0git (https://github.com/RadeonOpenCompute/llvm-project roc-6.4.0 25133 c7fe45cf4b819c5991fe208aaa96edf142730f1d)"
	.section	".note.GNU-stack","",@progbits
	.addrsig
	.addrsig_sym __hip_cuid_ed38c8afa9f4b2c3
	.amdgpu_metadata
---
amdhsa.kernels:
  - .args:
      - .actual_access:  read_only
        .address_space:  global
        .offset:         0
        .size:           8
        .value_kind:     global_buffer
      - .offset:         8
        .size:           8
        .value_kind:     by_value
      - .actual_access:  read_only
        .address_space:  global
        .offset:         16
        .size:           8
        .value_kind:     global_buffer
      - .actual_access:  read_only
        .address_space:  global
        .offset:         24
        .size:           8
        .value_kind:     global_buffer
      - .actual_access:  read_only
        .address_space:  global
        .offset:         32
        .size:           8
        .value_kind:     global_buffer
      - .offset:         40
        .size:           8
        .value_kind:     by_value
      - .actual_access:  read_only
        .address_space:  global
        .offset:         48
        .size:           8
        .value_kind:     global_buffer
      - .actual_access:  read_only
        .address_space:  global
        .offset:         56
        .size:           8
        .value_kind:     global_buffer
      - .offset:         64
        .size:           4
        .value_kind:     by_value
      - .actual_access:  read_only
        .address_space:  global
        .offset:         72
        .size:           8
        .value_kind:     global_buffer
      - .actual_access:  read_only
        .address_space:  global
        .offset:         80
        .size:           8
        .value_kind:     global_buffer
      - .actual_access:  read_only
        .address_space:  global
        .offset:         88
        .size:           8
        .value_kind:     global_buffer
      - .actual_access:  write_only
        .address_space:  global
        .offset:         96
        .size:           8
        .value_kind:     global_buffer
    .group_segment_fixed_size: 0
    .kernarg_segment_align: 8
    .kernarg_segment_size: 104
    .language:       OpenCL C
    .language_version:
      - 2
      - 0
    .max_flat_workgroup_size: 56
    .name:           fft_rtc_back_len560_factors_8_7_5_2_wgs_56_tpt_56_sp_op_CI_CI_unitstride_sbrr_C2R_dirReg
    .private_segment_fixed_size: 0
    .sgpr_count:     41
    .sgpr_spill_count: 0
    .symbol:         fft_rtc_back_len560_factors_8_7_5_2_wgs_56_tpt_56_sp_op_CI_CI_unitstride_sbrr_C2R_dirReg.kd
    .uniform_work_group_size: 1
    .uses_dynamic_stack: false
    .vgpr_count:     67
    .vgpr_spill_count: 0
    .wavefront_size: 32
    .workgroup_processor_mode: 1
amdhsa.target:   amdgcn-amd-amdhsa--gfx1201
amdhsa.version:
  - 1
  - 2
...

	.end_amdgpu_metadata
